;; amdgpu-corpus repo=zjin-lcf/HeCBench kind=compiled arch=gfx906 opt=O3
	.amdgcn_target "amdgcn-amd-amdhsa--gfx906"
	.amdhsa_code_object_version 6
	.text
	.protected	_Z15checkDuplicatesiPKi ; -- Begin function _Z15checkDuplicatesiPKi
	.globl	_Z15checkDuplicatesiPKi
	.p2align	8
	.type	_Z15checkDuplicatesiPKi,@function
_Z15checkDuplicatesiPKi:                ; @_Z15checkDuplicatesiPKi
; %bb.0:
	s_load_dwordx2 s[0:1], s[4:5], 0x8
	v_lshlrev_b32_e32 v1, 2, v0
	v_mbcnt_lo_u32_b32 v2, -1, 0
	v_mbcnt_hi_u32_b32 v2, -1, v2
	v_and_b32_e32 v8, 0x60, v2
	s_waitcnt lgkmcnt(0)
	global_load_dword v5, v1, s[0:1]
	v_xor_b32_e32 v4, 1, v2
	v_add_u32_e32 v8, 32, v8
	v_cmp_lt_i32_e32 vcc, v4, v8
	v_cndmask_b32_e32 v4, v2, v4, vcc
	v_lshlrev_b32_e32 v4, 2, v4
	v_xor_b32_e32 v10, 2, v2
	v_cmp_lt_i32_e32 vcc, v10, v8
	v_bfe_u32 v6, v0, 1, 1
	v_and_b32_e32 v3, 1, v0
	v_cndmask_b32_e32 v10, v2, v10, vcc
	v_xor_b32_e32 v7, v6, v3
	v_lshlrev_b32_e32 v10, 2, v10
	s_waitcnt vmcnt(0)
	ds_bpermute_b32 v9, v4, v5
	s_waitcnt lgkmcnt(0)
	v_cmp_lt_i32_e32 vcc, v5, v9
	v_cndmask_b32_e64 v11, 0, 1, vcc
	v_cmp_eq_u32_e32 vcc, v7, v11
	v_cndmask_b32_e32 v5, v5, v9, vcc
	ds_bpermute_b32 v7, v10, v5
	v_bfe_u32 v9, v0, 2, 1
	v_xor_b32_e32 v11, v9, v6
	v_xor_b32_e32 v12, v9, v3
	s_waitcnt lgkmcnt(0)
	v_cmp_lt_i32_e32 vcc, v5, v7
	v_cndmask_b32_e64 v13, 0, 1, vcc
	v_cmp_eq_u32_e32 vcc, v11, v13
	v_cndmask_b32_e32 v5, v5, v7, vcc
	ds_bpermute_b32 v7, v4, v5
	v_xor_b32_e32 v11, 4, v2
	v_cmp_lt_i32_e32 vcc, v11, v8
	v_cndmask_b32_e32 v11, v2, v11, vcc
	v_lshlrev_b32_e32 v11, 2, v11
	s_waitcnt lgkmcnt(0)
	v_cmp_lt_i32_e32 vcc, v5, v7
	v_cndmask_b32_e64 v13, 0, 1, vcc
	v_cmp_eq_u32_e32 vcc, v12, v13
	v_cndmask_b32_e32 v5, v5, v7, vcc
	ds_bpermute_b32 v7, v11, v5
	v_bfe_u32 v12, v0, 3, 1
	v_xor_b32_e32 v13, v12, v9
	s_waitcnt lgkmcnt(0)
	v_cmp_lt_i32_e32 vcc, v5, v7
	v_cndmask_b32_e64 v14, 0, 1, vcc
	v_cmp_eq_u32_e32 vcc, v13, v14
	v_cndmask_b32_e32 v5, v5, v7, vcc
	ds_bpermute_b32 v7, v10, v5
	v_xor_b32_e32 v13, v12, v6
	v_xor_b32_e32 v14, v12, v3
	s_waitcnt lgkmcnt(0)
	v_cmp_lt_i32_e32 vcc, v5, v7
	v_cndmask_b32_e64 v15, 0, 1, vcc
	v_cmp_eq_u32_e32 vcc, v13, v15
	v_cndmask_b32_e32 v5, v5, v7, vcc
	ds_bpermute_b32 v7, v4, v5
	v_xor_b32_e32 v13, 8, v2
	v_cmp_lt_i32_e32 vcc, v13, v8
	v_cndmask_b32_e32 v13, v2, v13, vcc
	v_lshlrev_b32_e32 v13, 2, v13
	s_waitcnt lgkmcnt(0)
	v_cmp_lt_i32_e32 vcc, v5, v7
	v_cndmask_b32_e64 v15, 0, 1, vcc
	v_cmp_eq_u32_e32 vcc, v14, v15
	v_cndmask_b32_e32 v5, v5, v7, vcc
	ds_bpermute_b32 v7, v13, v5
	v_bfe_u32 v14, v0, 4, 1
	v_xor_b32_e32 v12, v14, v12
	v_xor_b32_e32 v9, v14, v9
	;; [unrolled: 1-line block ×3, first 2 shown]
	s_waitcnt lgkmcnt(0)
	v_cmp_lt_i32_e32 vcc, v5, v7
	v_cndmask_b32_e64 v15, 0, 1, vcc
	v_cmp_eq_u32_e32 vcc, v12, v15
	v_cndmask_b32_e32 v5, v5, v7, vcc
	ds_bpermute_b32 v7, v11, v5
	s_waitcnt lgkmcnt(0)
	v_cmp_lt_i32_e32 vcc, v5, v7
	v_cndmask_b32_e64 v12, 0, 1, vcc
	v_cmp_eq_u32_e32 vcc, v9, v12
	v_cndmask_b32_e32 v5, v5, v7, vcc
	ds_bpermute_b32 v7, v10, v5
	v_xor_b32_e32 v9, v14, v3
	s_waitcnt lgkmcnt(0)
	v_cmp_lt_i32_e32 vcc, v5, v7
	v_cndmask_b32_e64 v12, 0, 1, vcc
	v_cmp_eq_u32_e32 vcc, v6, v12
	v_cndmask_b32_e32 v5, v5, v7, vcc
	ds_bpermute_b32 v6, v4, v5
	v_xor_b32_e32 v7, 16, v2
	v_cmp_lt_i32_e32 vcc, v7, v8
	v_cndmask_b32_e32 v7, v2, v7, vcc
	v_lshlrev_b32_e32 v7, 2, v7
	s_waitcnt lgkmcnt(0)
	v_cmp_lt_i32_e32 vcc, v5, v6
	v_cndmask_b32_e64 v8, 0, 1, vcc
	v_cmp_eq_u32_e32 vcc, v9, v8
	v_cndmask_b32_e32 v5, v5, v6, vcc
	ds_bpermute_b32 v6, v7, v5
	v_and_b32_e32 v7, 16, v0
	v_cmp_ne_u32_e32 vcc, 0, v7
	v_and_b32_e32 v7, 8, v0
	s_waitcnt lgkmcnt(0)
	v_cmp_ge_i32_e64 s[0:1], v5, v6
	s_xor_b64 vcc, s[0:1], vcc
	v_cndmask_b32_e32 v5, v5, v6, vcc
	ds_bpermute_b32 v6, v13, v5
	v_cmp_ne_u32_e32 vcc, 0, v7
	v_and_b32_e32 v7, 4, v0
	s_waitcnt lgkmcnt(0)
	v_cmp_ge_i32_e64 s[0:1], v5, v6
	s_xor_b64 vcc, s[0:1], vcc
	v_cndmask_b32_e32 v5, v5, v6, vcc
	ds_bpermute_b32 v6, v11, v5
	v_cmp_ne_u32_e32 vcc, 0, v7
	v_and_b32_e32 v7, 2, v0
	v_and_b32_e32 v0, 31, v0
	s_waitcnt lgkmcnt(0)
	v_cmp_ge_i32_e64 s[0:1], v5, v6
	s_xor_b64 vcc, s[0:1], vcc
	v_cndmask_b32_e32 v5, v5, v6, vcc
	ds_bpermute_b32 v6, v10, v5
	v_cmp_ne_u32_e32 vcc, 0, v7
	v_cmp_eq_u32_e64 s[0:1], 1, v3
	v_add_u32_e32 v3, -1, v2
	s_waitcnt lgkmcnt(0)
	v_cmp_ge_i32_e64 s[2:3], v5, v6
	s_xor_b64 vcc, s[2:3], vcc
	v_cndmask_b32_e32 v5, v5, v6, vcc
	ds_bpermute_b32 v4, v4, v5
	v_and_b32_e32 v6, 64, v2
	v_cmp_lt_i32_e32 vcc, v3, v6
	v_cndmask_b32_e32 v2, v3, v2, vcc
	v_lshlrev_b32_e32 v2, 2, v2
	s_waitcnt lgkmcnt(0)
	v_cmp_ge_i32_e32 vcc, v5, v4
	s_xor_b64 vcc, vcc, s[0:1]
	v_cndmask_b32_e32 v3, v5, v4, vcc
	ds_bpermute_b32 v2, v2, v3
	v_cmp_ne_u32_e32 vcc, 0, v0
	s_waitcnt lgkmcnt(0)
	v_cmp_eq_u32_e64 s[0:1], v2, v3
	s_and_b64 s[0:1], vcc, s[0:1]
	v_cndmask_b32_e64 v0, 0, 1, s[0:1]
	v_cmp_ne_u32_e32 vcc, 0, v0
	s_cmp_lg_u64 vcc, 0
	s_cselect_b64 s[0:1], -1, 0
	v_cndmask_b32_e64 v0, 0, 1, s[0:1]
	s_getpc_b64 s[0:1]
	s_add_u32 s0, s0, hasDuplicate@rel32@lo+4
	s_addc_u32 s1, s1, hasDuplicate@rel32@hi+12
	global_store_dword v1, v0, s[0:1]
	s_endpgm
	.section	.rodata,"a",@progbits
	.p2align	6, 0x0
	.amdhsa_kernel _Z15checkDuplicatesiPKi
		.amdhsa_group_segment_fixed_size 0
		.amdhsa_private_segment_fixed_size 0
		.amdhsa_kernarg_size 16
		.amdhsa_user_sgpr_count 6
		.amdhsa_user_sgpr_private_segment_buffer 1
		.amdhsa_user_sgpr_dispatch_ptr 0
		.amdhsa_user_sgpr_queue_ptr 0
		.amdhsa_user_sgpr_kernarg_segment_ptr 1
		.amdhsa_user_sgpr_dispatch_id 0
		.amdhsa_user_sgpr_flat_scratch_init 0
		.amdhsa_user_sgpr_private_segment_size 0
		.amdhsa_uses_dynamic_stack 0
		.amdhsa_system_sgpr_private_segment_wavefront_offset 0
		.amdhsa_system_sgpr_workgroup_id_x 1
		.amdhsa_system_sgpr_workgroup_id_y 0
		.amdhsa_system_sgpr_workgroup_id_z 0
		.amdhsa_system_sgpr_workgroup_info 0
		.amdhsa_system_vgpr_workitem_id 0
		.amdhsa_next_free_vgpr 16
		.amdhsa_next_free_sgpr 6
		.amdhsa_reserve_vcc 1
		.amdhsa_reserve_flat_scratch 0
		.amdhsa_float_round_mode_32 0
		.amdhsa_float_round_mode_16_64 0
		.amdhsa_float_denorm_mode_32 3
		.amdhsa_float_denorm_mode_16_64 3
		.amdhsa_dx10_clamp 1
		.amdhsa_ieee_mode 1
		.amdhsa_fp16_overflow 0
		.amdhsa_exception_fp_ieee_invalid_op 0
		.amdhsa_exception_fp_denorm_src 0
		.amdhsa_exception_fp_ieee_div_zero 0
		.amdhsa_exception_fp_ieee_overflow 0
		.amdhsa_exception_fp_ieee_underflow 0
		.amdhsa_exception_fp_ieee_inexact 0
		.amdhsa_exception_int_div_zero 0
	.end_amdhsa_kernel
	.text
.Lfunc_end0:
	.size	_Z15checkDuplicatesiPKi, .Lfunc_end0-_Z15checkDuplicatesiPKi
                                        ; -- End function
	.set _Z15checkDuplicatesiPKi.num_vgpr, 16
	.set _Z15checkDuplicatesiPKi.num_agpr, 0
	.set _Z15checkDuplicatesiPKi.numbered_sgpr, 6
	.set _Z15checkDuplicatesiPKi.num_named_barrier, 0
	.set _Z15checkDuplicatesiPKi.private_seg_size, 0
	.set _Z15checkDuplicatesiPKi.uses_vcc, 1
	.set _Z15checkDuplicatesiPKi.uses_flat_scratch, 0
	.set _Z15checkDuplicatesiPKi.has_dyn_sized_stack, 0
	.set _Z15checkDuplicatesiPKi.has_recursion, 0
	.set _Z15checkDuplicatesiPKi.has_indirect_call, 0
	.section	.AMDGPU.csdata,"",@progbits
; Kernel info:
; codeLenInByte = 820
; TotalNumSgprs: 10
; NumVgprs: 16
; ScratchSize: 0
; MemoryBound: 0
; FloatMode: 240
; IeeeMode: 1
; LDSByteSize: 0 bytes/workgroup (compile time only)
; SGPRBlocks: 1
; VGPRBlocks: 3
; NumSGPRsForWavesPerEU: 10
; NumVGPRsForWavesPerEU: 16
; Occupancy: 10
; WaveLimiterHint : 0
; COMPUTE_PGM_RSRC2:SCRATCH_EN: 0
; COMPUTE_PGM_RSRC2:USER_SGPR: 6
; COMPUTE_PGM_RSRC2:TRAP_HANDLER: 0
; COMPUTE_PGM_RSRC2:TGID_X_EN: 1
; COMPUTE_PGM_RSRC2:TGID_Y_EN: 0
; COMPUTE_PGM_RSRC2:TGID_Z_EN: 0
; COMPUTE_PGM_RSRC2:TIDIG_COMP_CNT: 0
	.text
	.protected	_Z18checkDuplicateMaskiPKi ; -- Begin function _Z18checkDuplicateMaskiPKi
	.globl	_Z18checkDuplicateMaskiPKi
	.p2align	8
	.type	_Z18checkDuplicateMaskiPKi,@function
_Z18checkDuplicateMaskiPKi:             ; @_Z18checkDuplicateMaskiPKi
; %bb.0:
	s_load_dwordx2 s[0:1], s[4:5], 0x8
	v_lshlrev_b32_e32 v1, 2, v0
	v_bfe_u32 v2, v0, 1, 1
	v_and_b32_e32 v7, 1, v0
	v_bfe_u32 v4, v0, 2, 1
	s_waitcnt lgkmcnt(0)
	global_load_dword v3, v1, s[0:1]
	v_mbcnt_lo_u32_b32 v1, -1, 0
	v_mbcnt_hi_u32_b32 v1, -1, v1
	v_bfe_u32 v5, v0, 3, 1
	v_bfe_u32 v11, v0, 4, 1
	v_and_b32_e32 v6, 16, v0
	v_and_b32_e32 v8, 8, v0
	;; [unrolled: 1-line block ×5, first 2 shown]
	v_xor_b32_e32 v14, v2, v7
	v_xor_b32_e32 v17, 1, v1
	;; [unrolled: 1-line block ×5, first 2 shown]
	v_cmp_ne_u32_e64 s[6:7], 0, v6
	v_xor_b32_e32 v9, v5, v2
	v_cmp_ne_u32_e64 s[4:5], 0, v8
	v_xor_b32_e32 v8, v5, v7
	v_xor_b32_e32 v6, v11, v5
	;; [unrolled: 1-line block ×5, first 2 shown]
	v_cmp_ne_u32_e64 s[0:1], 0, v16
	v_cmp_eq_u32_e32 vcc, 1, v7
	v_add_u32_e32 v7, -1, v1
	v_and_b32_e32 v11, 64, v1
	v_add_u32_e32 v16, 32, v18
	v_xor_b32_e32 v19, 2, v1
	v_xor_b32_e32 v20, 4, v1
	v_cmp_ne_u32_e64 s[2:3], 0, v15
	v_xor_b32_e32 v15, 8, v1
	v_cmp_lt_i32_e64 s[8:9], v7, v11
	v_xor_b32_e32 v11, 16, v1
	v_cmp_lt_i32_e64 s[10:11], v17, v16
	v_cmp_lt_i32_e64 s[12:13], v19, v16
	v_cmp_lt_i32_e64 s[14:15], v20, v16
	v_cmp_lt_i32_e64 s[16:17], v15, v16
	v_cmp_lt_i32_e64 s[18:19], v11, v16
	v_cndmask_b32_e64 v16, v7, v1, s[8:9]
	v_cndmask_b32_e64 v7, v1, v17, s[10:11]
	v_and_b32_e32 v18, 31, v0
	v_cndmask_b32_e64 v17, v1, v19, s[12:13]
	v_cndmask_b32_e64 v19, v1, v20, s[14:15]
	;; [unrolled: 1-line block ×4, first 2 shown]
	v_lshlrev_b32_e32 v1, 2, v7
	ds_bpermute_b32 v7, v1, v18
	v_lshlrev_b32_e32 v16, 2, v16
	s_waitcnt lgkmcnt(0)
	v_cmp_lt_i32_e64 s[8:9], v18, v7
	s_waitcnt vmcnt(0)
	ds_bpermute_b32 v11, v1, v3
	s_waitcnt lgkmcnt(0)
	v_cmp_eq_u32_e64 s[12:13], v3, v11
	v_cmp_lt_i32_e64 s[10:11], v3, v11
	s_and_b64 s[8:9], s[12:13], s[8:9]
	s_or_b64 s[8:9], s[10:11], s[8:9]
	v_cndmask_b32_e64 v21, 0, 1, s[8:9]
	v_cmp_eq_u32_e64 s[10:11], v14, v21
	v_cndmask_b32_e64 v11, v3, v11, s[10:11]
	v_lshlrev_b32_e32 v3, 2, v17
	v_cndmask_b32_e64 v7, v18, v7, s[10:11]
	v_cmp_ne_u32_e64 s[8:9], 0, v18
	ds_bpermute_b32 v17, v3, v11
	ds_bpermute_b32 v18, v3, v7
	s_waitcnt lgkmcnt(1)
	v_cmp_eq_u32_e64 s[12:13], v11, v17
	s_waitcnt lgkmcnt(0)
	v_cmp_lt_i32_e64 s[14:15], v7, v18
	v_cmp_lt_i32_e64 s[10:11], v11, v17
	s_and_b64 s[12:13], s[12:13], s[14:15]
	s_or_b64 s[10:11], s[10:11], s[12:13]
	v_cndmask_b32_e64 v21, 0, 1, s[10:11]
	v_cmp_eq_u32_e64 s[10:11], v13, v21
	v_cndmask_b32_e64 v11, v11, v17, s[10:11]
	v_cndmask_b32_e64 v17, v7, v18, s[10:11]
	ds_bpermute_b32 v7, v1, v11
	ds_bpermute_b32 v18, v1, v17
	s_waitcnt lgkmcnt(1)
	v_cmp_eq_u32_e64 s[12:13], v11, v7
	s_waitcnt lgkmcnt(0)
	v_cmp_lt_i32_e64 s[14:15], v17, v18
	v_cmp_lt_i32_e64 s[10:11], v11, v7
	s_and_b64 s[12:13], s[12:13], s[14:15]
	s_or_b64 s[10:11], s[10:11], s[12:13]
	v_cndmask_b32_e64 v21, 0, 1, s[10:11]
	v_cmp_eq_u32_e64 s[10:11], v12, v21
	v_cndmask_b32_e64 v11, v11, v7, s[10:11]
	v_lshlrev_b32_e32 v7, 2, v19
	v_cndmask_b32_e64 v17, v17, v18, s[10:11]
	ds_bpermute_b32 v18, v7, v11
	ds_bpermute_b32 v19, v7, v17
	s_waitcnt lgkmcnt(1)
	v_cmp_eq_u32_e64 s[12:13], v11, v18
	s_waitcnt lgkmcnt(0)
	v_cmp_lt_i32_e64 s[14:15], v17, v19
	v_cmp_lt_i32_e64 s[10:11], v11, v18
	s_and_b64 s[12:13], s[12:13], s[14:15]
	s_or_b64 s[10:11], s[10:11], s[12:13]
	v_cndmask_b32_e64 v21, 0, 1, s[10:11]
	v_cmp_eq_u32_e64 s[10:11], v10, v21
	v_cndmask_b32_e64 v11, v11, v18, s[10:11]
	v_cndmask_b32_e64 v17, v17, v19, s[10:11]
	ds_bpermute_b32 v18, v3, v11
	ds_bpermute_b32 v19, v3, v17
	s_waitcnt lgkmcnt(1)
	v_cmp_eq_u32_e64 s[12:13], v11, v18
	s_waitcnt lgkmcnt(0)
	v_cmp_lt_i32_e64 s[14:15], v17, v19
	v_cmp_lt_i32_e64 s[10:11], v11, v18
	s_and_b64 s[12:13], s[12:13], s[14:15]
	s_or_b64 s[10:11], s[10:11], s[12:13]
	v_cndmask_b32_e64 v21, 0, 1, s[10:11]
	v_cmp_eq_u32_e64 s[10:11], v9, v21
	v_cndmask_b32_e64 v11, v11, v18, s[10:11]
	v_cndmask_b32_e64 v17, v17, v19, s[10:11]
	ds_bpermute_b32 v18, v1, v11
	ds_bpermute_b32 v19, v1, v17
	s_waitcnt lgkmcnt(1)
	v_cmp_eq_u32_e64 s[12:13], v11, v18
	s_waitcnt lgkmcnt(0)
	v_cmp_lt_i32_e64 s[14:15], v17, v19
	v_cmp_lt_i32_e64 s[10:11], v11, v18
	s_and_b64 s[12:13], s[12:13], s[14:15]
	s_or_b64 s[10:11], s[10:11], s[12:13]
	v_cndmask_b32_e64 v21, 0, 1, s[10:11]
	v_cmp_eq_u32_e64 s[10:11], v8, v21
	v_cndmask_b32_e64 v18, v11, v18, s[10:11]
	v_lshlrev_b32_e32 v11, 2, v15
	v_cndmask_b32_e64 v15, v17, v19, s[10:11]
	ds_bpermute_b32 v17, v11, v18
	ds_bpermute_b32 v19, v11, v15
	s_waitcnt lgkmcnt(1)
	v_cmp_eq_u32_e64 s[12:13], v18, v17
	s_waitcnt lgkmcnt(0)
	v_cmp_lt_i32_e64 s[14:15], v15, v19
	v_cmp_lt_i32_e64 s[10:11], v18, v17
	s_and_b64 s[12:13], s[12:13], s[14:15]
	s_or_b64 s[10:11], s[10:11], s[12:13]
	v_cndmask_b32_e64 v21, 0, 1, s[10:11]
	v_cmp_eq_u32_e64 s[10:11], v6, v21
	v_cndmask_b32_e64 v17, v18, v17, s[10:11]
	v_cndmask_b32_e64 v15, v15, v19, s[10:11]
	ds_bpermute_b32 v18, v7, v17
	ds_bpermute_b32 v19, v7, v15
	s_waitcnt lgkmcnt(1)
	v_cmp_eq_u32_e64 s[12:13], v17, v18
	s_waitcnt lgkmcnt(0)
	v_cmp_lt_i32_e64 s[14:15], v15, v19
	v_cmp_lt_i32_e64 s[10:11], v17, v18
	s_and_b64 s[12:13], s[12:13], s[14:15]
	s_or_b64 s[10:11], s[10:11], s[12:13]
	v_cndmask_b32_e64 v21, 0, 1, s[10:11]
	v_cmp_eq_u32_e64 s[10:11], v5, v21
	v_cndmask_b32_e64 v17, v17, v18, s[10:11]
	;; [unrolled: 13-line block ×4, first 2 shown]
	v_lshlrev_b32_e32 v15, 2, v20
	v_cndmask_b32_e64 v18, v18, v19, s[10:11]
	ds_bpermute_b32 v19, v15, v17
	ds_bpermute_b32 v20, v15, v18
	s_waitcnt lgkmcnt(1)
	v_cmp_ne_u32_e64 s[12:13], v17, v19
	s_waitcnt lgkmcnt(0)
	v_cmp_ge_i32_e64 s[14:15], v18, v20
	v_cmp_ge_i32_e64 s[10:11], v17, v19
	s_or_b64 s[12:13], s[12:13], s[14:15]
	s_and_b64 s[10:11], s[10:11], s[12:13]
	s_xor_b64 s[10:11], s[10:11], s[6:7]
	v_cndmask_b32_e64 v17, v17, v19, s[10:11]
	v_cndmask_b32_e64 v18, v18, v20, s[10:11]
	ds_bpermute_b32 v19, v11, v17
	ds_bpermute_b32 v20, v11, v18
	s_waitcnt lgkmcnt(1)
	v_cmp_ne_u32_e64 s[12:13], v17, v19
	s_waitcnt lgkmcnt(0)
	v_cmp_ge_i32_e64 s[14:15], v18, v20
	v_cmp_ge_i32_e64 s[10:11], v17, v19
	s_or_b64 s[12:13], s[12:13], s[14:15]
	s_and_b64 s[10:11], s[10:11], s[12:13]
	s_xor_b64 s[10:11], s[10:11], s[4:5]
	v_cndmask_b32_e64 v17, v17, v19, s[10:11]
	v_cndmask_b32_e64 v18, v18, v20, s[10:11]
	ds_bpermute_b32 v19, v7, v17
	ds_bpermute_b32 v20, v7, v18
	s_waitcnt lgkmcnt(1)
	v_cmp_ne_u32_e64 s[12:13], v17, v19
	s_waitcnt lgkmcnt(0)
	v_cmp_ge_i32_e64 s[14:15], v18, v20
	v_cmp_ge_i32_e64 s[10:11], v17, v19
	s_or_b64 s[12:13], s[12:13], s[14:15]
	s_and_b64 s[10:11], s[10:11], s[12:13]
	s_xor_b64 s[10:11], s[10:11], s[2:3]
	v_cndmask_b32_e64 v17, v17, v19, s[10:11]
	v_cndmask_b32_e64 v18, v18, v20, s[10:11]
	ds_bpermute_b32 v19, v3, v17
	ds_bpermute_b32 v20, v3, v18
	s_waitcnt lgkmcnt(1)
	v_cmp_ne_u32_e64 s[12:13], v17, v19
	s_waitcnt lgkmcnt(0)
	v_cmp_ge_i32_e64 s[14:15], v18, v20
	v_cmp_ge_i32_e64 s[10:11], v17, v19
	s_or_b64 s[12:13], s[12:13], s[14:15]
	s_and_b64 s[10:11], s[10:11], s[12:13]
	s_xor_b64 s[10:11], s[10:11], s[0:1]
	v_cndmask_b32_e64 v17, v17, v19, s[10:11]
	v_cndmask_b32_e64 v18, v18, v20, s[10:11]
	ds_bpermute_b32 v19, v1, v17
	ds_bpermute_b32 v20, v1, v18
	s_waitcnt lgkmcnt(1)
	v_cmp_ne_u32_e64 s[12:13], v17, v19
	s_waitcnt lgkmcnt(0)
	v_cmp_ge_i32_e64 s[14:15], v18, v20
	v_cmp_ge_i32_e64 s[10:11], v17, v19
	s_or_b64 s[12:13], s[12:13], s[14:15]
	s_and_b64 s[10:11], s[10:11], s[12:13]
	s_xor_b64 s[10:11], s[10:11], vcc
	v_cndmask_b32_e64 v17, v17, v19, s[10:11]
	ds_bpermute_b32 v16, v16, v17
	v_cndmask_b32_e64 v18, v18, v20, s[10:11]
	ds_bpermute_b32 v19, v1, v18
	s_waitcnt lgkmcnt(1)
	v_cmp_eq_u32_e64 s[10:11], v16, v17
	s_and_b64 s[12:13], s[8:9], s[10:11]
	v_cndmask_b32_e64 v16, 0, 1, s[12:13]
	ds_bpermute_b32 v17, v1, v16
	s_waitcnt lgkmcnt(1)
	v_cmp_eq_u32_e64 s[10:11], v18, v19
	s_xor_b64 s[12:13], s[12:13], -1
	s_and_b64 s[12:13], s[10:11], s[12:13]
	v_cmp_lt_i32_e64 s[8:9], v18, v19
	s_waitcnt lgkmcnt(0)
	v_cmp_ne_u32_e64 s[10:11], 0, v17
	v_cndmask_b32_e64 v17, 0, 1, s[10:11]
	s_and_b64 s[10:11], s[10:11], s[12:13]
	s_or_b64 s[8:9], s[8:9], s[10:11]
	v_cndmask_b32_e64 v20, 0, 1, s[8:9]
	v_cmp_eq_u32_e64 s[8:9], v14, v20
	v_cndmask_b32_e64 v14, v18, v19, s[8:9]
	ds_bpermute_b32 v18, v3, v14
	v_cndmask_b32_e64 v16, v16, v17, s[8:9]
	ds_bpermute_b32 v17, v3, v16
	v_cmp_eq_u32_e64 s[8:9], 0, v16
	s_waitcnt lgkmcnt(1)
	v_cmp_eq_u32_e64 s[12:13], v14, v18
	s_and_b64 s[8:9], s[12:13], s[8:9]
	s_waitcnt lgkmcnt(0)
	v_cmp_ne_u32_e64 s[14:15], 0, v17
	v_cmp_lt_i32_e64 s[10:11], v14, v18
	s_and_b64 s[8:9], s[14:15], s[8:9]
	s_or_b64 s[8:9], s[10:11], s[8:9]
	v_cndmask_b32_e64 v19, 0, 1, s[8:9]
	v_cmp_eq_u32_e64 s[8:9], v13, v19
	v_cndmask_b32_e64 v17, 0, 1, s[14:15]
	v_cndmask_b32_e64 v13, v14, v18, s[8:9]
	ds_bpermute_b32 v14, v1, v13
	v_cndmask_b32_e64 v16, v16, v17, s[8:9]
	ds_bpermute_b32 v17, v1, v16
	v_cmp_eq_u32_e64 s[8:9], 0, v16
	s_waitcnt lgkmcnt(1)
	v_cmp_eq_u32_e64 s[12:13], v13, v14
	s_and_b64 s[8:9], s[12:13], s[8:9]
	s_waitcnt lgkmcnt(0)
	v_cmp_ne_u32_e64 s[14:15], 0, v17
	v_cmp_lt_i32_e64 s[10:11], v13, v14
	s_and_b64 s[8:9], s[14:15], s[8:9]
	s_or_b64 s[8:9], s[10:11], s[8:9]
	v_cndmask_b32_e64 v18, 0, 1, s[8:9]
	v_cmp_eq_u32_e64 s[8:9], v12, v18
	v_cndmask_b32_e64 v17, 0, 1, s[14:15]
	;; [unrolled: 16-line block ×4, first 2 shown]
	v_cndmask_b32_e64 v9, v10, v12, s[8:9]
	v_cndmask_b32_e64 v10, v13, v14, s[8:9]
	ds_bpermute_b32 v13, v1, v9
	ds_bpermute_b32 v12, v1, v10
	v_cmp_eq_u32_e64 s[14:15], 0, v10
	s_waitcnt lgkmcnt(1)
	v_cmp_eq_u32_e64 s[12:13], v9, v13
	s_waitcnt lgkmcnt(0)
	v_cmp_ne_u32_e64 s[8:9], 0, v12
	s_and_b64 s[12:13], s[12:13], s[14:15]
	v_cndmask_b32_e64 v12, 0, 1, s[8:9]
	v_cmp_lt_i32_e64 s[10:11], v9, v13
	s_and_b64 s[8:9], s[8:9], s[12:13]
	s_or_b64 s[8:9], s[10:11], s[8:9]
	v_cndmask_b32_e64 v14, 0, 1, s[8:9]
	v_cmp_eq_u32_e64 s[8:9], v8, v14
	v_cndmask_b32_e64 v8, v9, v13, s[8:9]
	v_cndmask_b32_e64 v9, v10, v12, s[8:9]
	ds_bpermute_b32 v12, v11, v8
	ds_bpermute_b32 v10, v11, v9
	v_cmp_eq_u32_e64 s[14:15], 0, v9
	s_waitcnt lgkmcnt(1)
	v_cmp_eq_u32_e64 s[12:13], v8, v12
	s_waitcnt lgkmcnt(0)
	v_cmp_ne_u32_e64 s[8:9], 0, v10
	s_and_b64 s[12:13], s[12:13], s[14:15]
	v_cndmask_b32_e64 v10, 0, 1, s[8:9]
	v_cmp_lt_i32_e64 s[10:11], v8, v12
	s_and_b64 s[8:9], s[8:9], s[12:13]
	s_or_b64 s[8:9], s[10:11], s[8:9]
	v_cndmask_b32_e64 v13, 0, 1, s[8:9]
	v_cmp_eq_u32_e64 s[8:9], v6, v13
	v_cndmask_b32_e64 v6, v8, v12, s[8:9]
	v_cndmask_b32_e64 v8, v9, v10, s[8:9]
	ds_bpermute_b32 v10, v7, v6
	ds_bpermute_b32 v9, v7, v8
	v_cmp_eq_u32_e64 s[14:15], 0, v8
	s_waitcnt lgkmcnt(1)
	v_cmp_eq_u32_e64 s[12:13], v6, v10
	s_waitcnt lgkmcnt(0)
	v_cmp_ne_u32_e64 s[8:9], 0, v9
	s_and_b64 s[12:13], s[12:13], s[14:15]
	v_cndmask_b32_e64 v9, 0, 1, s[8:9]
	v_cmp_lt_i32_e64 s[10:11], v6, v10
	s_and_b64 s[8:9], s[8:9], s[12:13]
	s_or_b64 s[8:9], s[10:11], s[8:9]
	v_cndmask_b32_e64 v12, 0, 1, s[8:9]
	v_cmp_eq_u32_e64 s[8:9], v5, v12
	v_cndmask_b32_e64 v5, v6, v10, s[8:9]
	v_cndmask_b32_e64 v6, v8, v9, s[8:9]
	ds_bpermute_b32 v9, v3, v5
	ds_bpermute_b32 v8, v3, v6
	v_cmp_eq_u32_e64 s[14:15], 0, v6
	s_waitcnt lgkmcnt(1)
	v_cmp_eq_u32_e64 s[12:13], v5, v9
	s_waitcnt lgkmcnt(0)
	v_cmp_ne_u32_e64 s[8:9], 0, v8
	s_and_b64 s[12:13], s[12:13], s[14:15]
	v_cndmask_b32_e64 v8, 0, 1, s[8:9]
	v_cmp_lt_i32_e64 s[10:11], v5, v9
	s_and_b64 s[8:9], s[8:9], s[12:13]
	s_or_b64 s[8:9], s[10:11], s[8:9]
	v_cndmask_b32_e64 v10, 0, 1, s[8:9]
	v_cmp_eq_u32_e64 s[8:9], v4, v10
	v_cndmask_b32_e64 v4, v5, v9, s[8:9]
	v_cndmask_b32_e64 v5, v6, v8, s[8:9]
	ds_bpermute_b32 v8, v1, v4
	ds_bpermute_b32 v6, v1, v5
	v_cmp_eq_u32_e64 s[14:15], 0, v5
	s_waitcnt lgkmcnt(1)
	v_cmp_eq_u32_e64 s[12:13], v4, v8
	s_waitcnt lgkmcnt(0)
	v_cmp_ne_u32_e64 s[8:9], 0, v6
	s_and_b64 s[12:13], s[12:13], s[14:15]
	v_cndmask_b32_e64 v6, 0, 1, s[8:9]
	v_cmp_lt_i32_e64 s[10:11], v4, v8
	s_and_b64 s[8:9], s[8:9], s[12:13]
	s_or_b64 s[8:9], s[10:11], s[8:9]
	v_cndmask_b32_e64 v9, 0, 1, s[8:9]
	v_cmp_eq_u32_e64 s[8:9], v2, v9
	v_cndmask_b32_e64 v2, v4, v8, s[8:9]
	v_cndmask_b32_e64 v4, v5, v6, s[8:9]
	ds_bpermute_b32 v6, v15, v2
	ds_bpermute_b32 v5, v15, v4
	v_cmp_eq_u32_e64 s[14:15], 0, v4
	s_waitcnt lgkmcnt(1)
	v_cmp_eq_u32_e64 s[12:13], v2, v6
	s_waitcnt lgkmcnt(0)
	v_cmp_ne_u32_e64 s[8:9], 0, v5
	s_and_b64 s[12:13], s[12:13], s[14:15]
	v_cndmask_b32_e64 v5, 0, 1, s[8:9]
	v_cmp_lt_i32_e64 s[10:11], v2, v6
	s_and_b64 s[8:9], s[8:9], s[12:13]
	s_or_b64 s[8:9], s[10:11], s[8:9]
	s_xor_b64 s[6:7], s[8:9], s[6:7]
	v_cndmask_b32_e64 v2, v6, v2, s[6:7]
	v_cndmask_b32_e64 v4, v5, v4, s[6:7]
	ds_bpermute_b32 v6, v11, v2
	ds_bpermute_b32 v5, v11, v4
	v_cmp_eq_u32_e64 s[12:13], 0, v4
	s_waitcnt lgkmcnt(1)
	v_cmp_eq_u32_e64 s[10:11], v2, v6
	s_waitcnt lgkmcnt(0)
	v_cmp_ne_u32_e64 s[6:7], 0, v5
	s_and_b64 s[10:11], s[10:11], s[12:13]
	v_cndmask_b32_e64 v5, 0, 1, s[6:7]
	v_cmp_lt_i32_e64 s[8:9], v2, v6
	s_and_b64 s[6:7], s[6:7], s[10:11]
	s_or_b64 s[6:7], s[8:9], s[6:7]
	s_xor_b64 s[4:5], s[6:7], s[4:5]
	;; [unrolled: 15-line block ×3, first 2 shown]
	v_cndmask_b32_e64 v2, v6, v2, s[2:3]
	v_cndmask_b32_e64 v4, v5, v4, s[2:3]
	ds_bpermute_b32 v5, v3, v4
	ds_bpermute_b32 v3, v3, v2
	v_cmp_eq_u32_e64 s[8:9], 0, v4
	s_waitcnt lgkmcnt(1)
	v_cmp_ne_u32_e64 s[2:3], 0, v5
	s_waitcnt lgkmcnt(0)
	v_cmp_eq_u32_e64 s[6:7], v2, v3
	s_and_b64 s[6:7], s[6:7], s[8:9]
	v_cndmask_b32_e64 v5, 0, 1, s[2:3]
	v_cmp_lt_i32_e64 s[4:5], v2, v3
	s_and_b64 s[2:3], s[2:3], s[6:7]
	s_or_b64 s[2:3], s[4:5], s[2:3]
	s_xor_b64 s[0:1], s[2:3], s[0:1]
	v_cndmask_b32_e64 v2, v3, v2, s[0:1]
	v_cndmask_b32_e64 v3, v5, v4, s[0:1]
	ds_bpermute_b32 v4, v1, v3
	ds_bpermute_b32 v1, v1, v2
	v_cmp_eq_u32_e64 s[6:7], 0, v3
	s_waitcnt lgkmcnt(1)
	v_cmp_ne_u32_e64 s[0:1], 0, v4
	s_waitcnt lgkmcnt(0)
	v_cmp_eq_u32_e64 s[4:5], v2, v1
	s_and_b64 s[4:5], s[4:5], s[6:7]
	v_cmp_lt_i32_e64 s[2:3], v2, v1
	s_and_b64 s[0:1], s[0:1], s[4:5]
	s_or_b64 s[0:1], s[2:3], s[0:1]
	s_xor_b64 vcc, s[0:1], vcc
	v_cndmask_b32_e32 v1, v4, v3, vcc
	v_cmp_ne_u32_e32 vcc, 0, v1
	v_cmp_eq_u32_e64 s[0:1], 0, v0
	s_and_saveexec_b64 s[2:3], s[0:1]
	s_cbranch_execz .LBB1_2
; %bb.1:
	s_getpc_b64 s[0:1]
	s_add_u32 s0, s0, duplicateMask@rel32@lo+4
	s_addc_u32 s1, s1, duplicateMask@rel32@hi+12
	v_mov_b32_e32 v0, 0
	v_mov_b32_e32 v1, vcc_lo
	global_store_dword v0, v1, s[0:1]
.LBB1_2:
	s_endpgm
	.section	.rodata,"a",@progbits
	.p2align	6, 0x0
	.amdhsa_kernel _Z18checkDuplicateMaskiPKi
		.amdhsa_group_segment_fixed_size 0
		.amdhsa_private_segment_fixed_size 0
		.amdhsa_kernarg_size 16
		.amdhsa_user_sgpr_count 6
		.amdhsa_user_sgpr_private_segment_buffer 1
		.amdhsa_user_sgpr_dispatch_ptr 0
		.amdhsa_user_sgpr_queue_ptr 0
		.amdhsa_user_sgpr_kernarg_segment_ptr 1
		.amdhsa_user_sgpr_dispatch_id 0
		.amdhsa_user_sgpr_flat_scratch_init 0
		.amdhsa_user_sgpr_private_segment_size 0
		.amdhsa_uses_dynamic_stack 0
		.amdhsa_system_sgpr_private_segment_wavefront_offset 0
		.amdhsa_system_sgpr_workgroup_id_x 1
		.amdhsa_system_sgpr_workgroup_id_y 0
		.amdhsa_system_sgpr_workgroup_id_z 0
		.amdhsa_system_sgpr_workgroup_info 0
		.amdhsa_system_vgpr_workitem_id 0
		.amdhsa_next_free_vgpr 22
		.amdhsa_next_free_sgpr 20
		.amdhsa_reserve_vcc 1
		.amdhsa_reserve_flat_scratch 0
		.amdhsa_float_round_mode_32 0
		.amdhsa_float_round_mode_16_64 0
		.amdhsa_float_denorm_mode_32 3
		.amdhsa_float_denorm_mode_16_64 3
		.amdhsa_dx10_clamp 1
		.amdhsa_ieee_mode 1
		.amdhsa_fp16_overflow 0
		.amdhsa_exception_fp_ieee_invalid_op 0
		.amdhsa_exception_fp_denorm_src 0
		.amdhsa_exception_fp_ieee_div_zero 0
		.amdhsa_exception_fp_ieee_overflow 0
		.amdhsa_exception_fp_ieee_underflow 0
		.amdhsa_exception_fp_ieee_inexact 0
		.amdhsa_exception_int_div_zero 0
	.end_amdhsa_kernel
	.text
.Lfunc_end1:
	.size	_Z18checkDuplicateMaskiPKi, .Lfunc_end1-_Z18checkDuplicateMaskiPKi
                                        ; -- End function
	.set _Z18checkDuplicateMaskiPKi.num_vgpr, 22
	.set _Z18checkDuplicateMaskiPKi.num_agpr, 0
	.set _Z18checkDuplicateMaskiPKi.numbered_sgpr, 20
	.set _Z18checkDuplicateMaskiPKi.num_named_barrier, 0
	.set _Z18checkDuplicateMaskiPKi.private_seg_size, 0
	.set _Z18checkDuplicateMaskiPKi.uses_vcc, 1
	.set _Z18checkDuplicateMaskiPKi.uses_flat_scratch, 0
	.set _Z18checkDuplicateMaskiPKi.has_dyn_sized_stack, 0
	.set _Z18checkDuplicateMaskiPKi.has_recursion, 0
	.set _Z18checkDuplicateMaskiPKi.has_indirect_call, 0
	.section	.AMDGPU.csdata,"",@progbits
; Kernel info:
; codeLenInByte = 3232
; TotalNumSgprs: 24
; NumVgprs: 22
; ScratchSize: 0
; MemoryBound: 0
; FloatMode: 240
; IeeeMode: 1
; LDSByteSize: 0 bytes/workgroup (compile time only)
; SGPRBlocks: 2
; VGPRBlocks: 5
; NumSGPRsForWavesPerEU: 24
; NumVGPRsForWavesPerEU: 22
; Occupancy: 10
; WaveLimiterHint : 0
; COMPUTE_PGM_RSRC2:SCRATCH_EN: 0
; COMPUTE_PGM_RSRC2:USER_SGPR: 6
; COMPUTE_PGM_RSRC2:TRAP_HANDLER: 0
; COMPUTE_PGM_RSRC2:TGID_X_EN: 1
; COMPUTE_PGM_RSRC2:TGID_Y_EN: 0
; COMPUTE_PGM_RSRC2:TGID_Z_EN: 0
; COMPUTE_PGM_RSRC2:TIDIG_COMP_CNT: 0
	.section	.AMDGPU.gpr_maximums,"",@progbits
	.set amdgpu.max_num_vgpr, 0
	.set amdgpu.max_num_agpr, 0
	.set amdgpu.max_num_sgpr, 0
	.section	.AMDGPU.csdata,"",@progbits
	.protected	hasDuplicate            ; @hasDuplicate
	.type	hasDuplicate,@object
	.section	.bss,"aw",@nobits
	.globl	hasDuplicate
	.p2align	4, 0x0
hasDuplicate:
	.zero	128
	.size	hasDuplicate, 128

	.protected	duplicateMask           ; @duplicateMask
	.type	duplicateMask,@object
	.globl	duplicateMask
	.p2align	2, 0x0
duplicateMask:
	.long	0                               ; 0x0
	.size	duplicateMask, 4

	.type	__hip_cuid_423cfbb59e9714dc,@object ; @__hip_cuid_423cfbb59e9714dc
	.globl	__hip_cuid_423cfbb59e9714dc
__hip_cuid_423cfbb59e9714dc:
	.byte	0                               ; 0x0
	.size	__hip_cuid_423cfbb59e9714dc, 1

	.ident	"AMD clang version 22.0.0git (https://github.com/RadeonOpenCompute/llvm-project roc-7.2.4 26084 f58b06dce1f9c15707c5f808fd002e18c2accf7e)"
	.section	".note.GNU-stack","",@progbits
	.addrsig
	.addrsig_sym hasDuplicate
	.addrsig_sym duplicateMask
	.addrsig_sym __hip_cuid_423cfbb59e9714dc
	.amdgpu_metadata
---
amdhsa.kernels:
  - .args:
      - .offset:         0
        .size:           4
        .value_kind:     by_value
      - .address_space:  global
        .offset:         8
        .size:           8
        .value_kind:     global_buffer
    .group_segment_fixed_size: 0
    .kernarg_segment_align: 8
    .kernarg_segment_size: 16
    .language:       OpenCL C
    .language_version:
      - 2
      - 0
    .max_flat_workgroup_size: 1024
    .name:           _Z15checkDuplicatesiPKi
    .private_segment_fixed_size: 0
    .sgpr_count:     10
    .sgpr_spill_count: 0
    .symbol:         _Z15checkDuplicatesiPKi.kd
    .uniform_work_group_size: 1
    .uses_dynamic_stack: false
    .vgpr_count:     16
    .vgpr_spill_count: 0
    .wavefront_size: 64
  - .args:
      - .offset:         0
        .size:           4
        .value_kind:     by_value
      - .address_space:  global
        .offset:         8
        .size:           8
        .value_kind:     global_buffer
    .group_segment_fixed_size: 0
    .kernarg_segment_align: 8
    .kernarg_segment_size: 16
    .language:       OpenCL C
    .language_version:
      - 2
      - 0
    .max_flat_workgroup_size: 1024
    .name:           _Z18checkDuplicateMaskiPKi
    .private_segment_fixed_size: 0
    .sgpr_count:     24
    .sgpr_spill_count: 0
    .symbol:         _Z18checkDuplicateMaskiPKi.kd
    .uniform_work_group_size: 1
    .uses_dynamic_stack: false
    .vgpr_count:     22
    .vgpr_spill_count: 0
    .wavefront_size: 64
amdhsa.target:   amdgcn-amd-amdhsa--gfx906
amdhsa.version:
  - 1
  - 2
...

	.end_amdgpu_metadata
